;; amdgpu-corpus repo=ROCm/rocFFT kind=compiled arch=gfx1030 opt=O3
	.text
	.amdgcn_target "amdgcn-amd-amdhsa--gfx1030"
	.amdhsa_code_object_version 6
	.protected	bluestein_single_back_len112_dim1_sp_op_CI_CI ; -- Begin function bluestein_single_back_len112_dim1_sp_op_CI_CI
	.globl	bluestein_single_back_len112_dim1_sp_op_CI_CI
	.p2align	8
	.type	bluestein_single_back_len112_dim1_sp_op_CI_CI,@function
bluestein_single_back_len112_dim1_sp_op_CI_CI: ; @bluestein_single_back_len112_dim1_sp_op_CI_CI
; %bb.0:
	s_load_dwordx4 s[0:3], s[4:5], 0x28
	v_lshrrev_b32_e32 v1, 4, v0
	v_mov_b32_e32 v45, 0
	v_lshl_or_b32 v44, s6, 4, v1
	s_waitcnt lgkmcnt(0)
	v_cmp_gt_u64_e32 vcc_lo, s[0:1], v[44:45]
	s_and_saveexec_b32 s0, vcc_lo
	s_cbranch_execz .LBB0_15
; %bb.1:
	s_clause 0x1
	s_load_dwordx2 s[6:7], s[4:5], 0x0
	s_load_dwordx2 s[12:13], s[4:5], 0x38
	v_and_b32_e32 v47, 15, v0
	v_mul_u32_u24_e32 v48, 0x70, v1
	v_cmp_gt_u32_e32 vcc_lo, 7, v47
	v_lshlrev_b32_e32 v45, 3, v47
	v_or_b32_e32 v32, v48, v47
	v_add_lshl_u32 v0, v48, v47, 3
	v_or_b32_e32 v46, 56, v47
	s_and_saveexec_b32 s1, vcc_lo
	s_cbranch_execz .LBB0_3
; %bb.2:
	s_load_dwordx2 s[8:9], s[4:5], 0x18
	s_waitcnt lgkmcnt(0)
	global_load_dwordx2 v[12:13], v45, s[6:7]
	s_load_dwordx4 s[8:11], s[8:9], 0x0
	s_waitcnt lgkmcnt(0)
	v_mad_u64_u32 v[1:2], null, s10, v44, 0
	v_mad_u64_u32 v[3:4], null, s8, v47, 0
	s_mul_i32 s10, s9, 56
	v_mad_u64_u32 v[5:6], null, s11, v44, v[2:3]
	s_mul_hi_u32 s11, s8, 56
	s_add_i32 s11, s11, s10
	v_mad_u64_u32 v[6:7], null, s9, v47, v[4:5]
	v_mov_b32_e32 v2, v5
	v_lshlrev_b64 v[1:2], 3, v[1:2]
	v_mov_b32_e32 v4, v6
	v_mad_u64_u32 v[5:6], null, s8, v46, 0
	v_lshlrev_b64 v[3:4], 3, v[3:4]
	v_add_co_u32 v20, s0, s2, v1
	v_add_co_ci_u32_e64 v21, s0, s3, v2, s0
	s_mul_i32 s2, s8, 56
	v_add_co_u32 v1, s0, v20, v3
	v_add_co_ci_u32_e64 v2, s0, v21, v4, s0
	v_add_co_u32 v3, s0, v1, s2
	v_add_co_ci_u32_e64 v4, s0, s11, v2, s0
	;; [unrolled: 2-line block ×3, first 2 shown]
	v_mad_u64_u32 v[9:10], null, s9, v46, v[6:7]
	v_add_co_u32 v10, s0, v7, s2
	v_add_co_ci_u32_e64 v11, s0, s11, v8, s0
	v_add_co_u32 v14, s0, v10, s2
	v_add_co_ci_u32_e64 v15, s0, s11, v11, s0
	v_mov_b32_e32 v6, v9
	v_add_co_u32 v16, s0, v14, s2
	v_add_co_ci_u32_e64 v17, s0, s11, v15, s0
	v_lshlrev_b64 v[5:6], 3, v[5:6]
	v_add_co_u32 v18, s0, v16, s2
	v_add_co_ci_u32_e64 v19, s0, s11, v17, s0
	v_add_co_u32 v5, s0, v20, v5
	v_add_co_ci_u32_e64 v6, s0, v21, v6, s0
	global_load_dwordx2 v[22:23], v45, s[6:7] offset:448
	s_clause 0x2
	global_load_dwordx2 v[1:2], v[1:2], off
	global_load_dwordx2 v[5:6], v[5:6], off
	global_load_dwordx2 v[3:4], v[3:4], off
	s_clause 0x2
	global_load_dwordx2 v[26:27], v45, s[6:7] offset:56
	global_load_dwordx2 v[28:29], v45, s[6:7] offset:112
	;; [unrolled: 1-line block ×3, first 2 shown]
	global_load_dwordx2 v[7:8], v[7:8], off
	s_clause 0x3
	global_load_dwordx2 v[33:34], v45, s[6:7] offset:224
	global_load_dwordx2 v[35:36], v45, s[6:7] offset:280
	;; [unrolled: 1-line block ×4, first 2 shown]
	global_load_dwordx2 v[10:11], v[10:11], off
	v_add_co_u32 v20, s0, v18, s2
	v_add_co_ci_u32_e64 v21, s0, s11, v19, s0
	v_mad_u64_u32 v[24:25], null, 0x70, s8, v[20:21]
	v_mov_b32_e32 v9, v25
	v_add_co_u32 v57, s0, v24, s2
	s_waitcnt vmcnt(11)
	v_mul_f32_e32 v73, v2, v13
	v_mul_f32_e32 v13, v1, v13
	s_waitcnt vmcnt(10)
	v_mul_f32_e32 v75, v6, v23
	s_waitcnt vmcnt(0)
	v_mad_u64_u32 v[41:42], null, 0x70, s9, v[9:10]
	s_clause 0x2
	global_load_dwordx2 v[42:43], v45, s[6:7] offset:504
	global_load_dwordx2 v[49:50], v45, s[6:7] offset:560
	;; [unrolled: 1-line block ×3, first 2 shown]
	global_load_dwordx2 v[14:15], v[14:15], off
	global_load_dwordx2 v[16:17], v[16:17], off
	s_clause 0x1
	global_load_dwordx2 v[53:54], v45, s[6:7] offset:672
	global_load_dwordx2 v[55:56], v45, s[6:7] offset:728
	global_load_dwordx2 v[18:19], v[18:19], off
	global_load_dwordx2 v[20:21], v[20:21], off
	v_fmac_f32_e32 v73, v1, v12
	v_mul_f32_e32 v1, v4, v27
	v_fma_f32 v74, v2, v12, -v13
	v_mul_f32_e32 v2, v3, v27
	v_mov_b32_e32 v25, v41
	v_lshlrev_b32_e32 v9, 3, v32
	v_mul_f32_e32 v23, v5, v23
	v_fmac_f32_e32 v75, v5, v22
	v_fmac_f32_e32 v1, v3, v26
	v_add_co_ci_u32_e64 v58, s0, s11, v25, s0
	v_add_co_u32 v59, s0, v57, s2
	global_load_dwordx2 v[24:25], v[24:25], off
	v_add_co_ci_u32_e64 v60, s0, s11, v58, s0
	v_add_co_u32 v61, s0, v59, s2
	global_load_dwordx2 v[57:58], v[57:58], off
	;; [unrolled: 3-line block ×5, first 2 shown]
	v_add_co_ci_u32_e64 v68, s0, s11, v66, s0
	global_load_dwordx2 v[65:66], v[65:66], off
	s_clause 0x1
	global_load_dwordx2 v[69:70], v45, s[6:7] offset:784
	global_load_dwordx2 v[71:72], v45, s[6:7] offset:840
	global_load_dwordx2 v[67:68], v[67:68], off
	v_mul_f32_e32 v3, v8, v29
	v_mul_f32_e32 v5, v7, v29
	v_fma_f32 v2, v4, v26, -v2
	v_fma_f32 v76, v6, v22, -v23
	ds_write_b64 v9, v[73:74]
	v_mul_f32_e32 v6, v10, v31
	v_fmac_f32_e32 v3, v7, v28
	v_fma_f32 v4, v8, v28, -v5
	v_mul_f32_e32 v5, v11, v31
	ds_write_b64 v0, v[1:2] offset:56
	v_lshl_add_u32 v41, v48, 3, v45
	v_fma_f32 v6, v11, v30, -v6
	v_fmac_f32_e32 v5, v10, v30
	ds_write2_b64 v41, v[3:4], v[5:6] offset0:14 offset1:21
	s_waitcnt vmcnt(14)
	v_mul_f32_e32 v2, v14, v34
	v_mul_f32_e32 v1, v15, v34
	s_waitcnt vmcnt(13)
	v_mul_f32_e32 v7, v17, v36
	v_mul_f32_e32 v8, v16, v36
	s_waitcnt vmcnt(10)
	v_mul_f32_e32 v9, v19, v38
	v_fma_f32 v2, v15, v33, -v2
	v_fmac_f32_e32 v1, v14, v33
	v_fmac_f32_e32 v7, v16, v35
	v_fma_f32 v8, v17, v35, -v8
	v_mul_f32_e32 v10, v18, v38
	s_waitcnt vmcnt(9)
	v_mul_f32_e32 v3, v21, v40
	v_fmac_f32_e32 v9, v18, v37
	ds_write2_b64 v41, v[1:2], v[7:8] offset0:28 offset1:35
	v_mul_f32_e32 v2, v20, v40
	v_fma_f32 v10, v19, v37, -v10
	v_fmac_f32_e32 v3, v20, v39
	s_waitcnt vmcnt(8)
	v_mul_f32_e32 v6, v24, v43
	v_mul_f32_e32 v1, v25, v43
	v_fma_f32 v4, v21, v39, -v2
	s_waitcnt vmcnt(7)
	v_mul_f32_e32 v8, v57, v50
	v_mul_f32_e32 v5, v58, v50
	v_fma_f32 v2, v25, v42, -v6
	v_fmac_f32_e32 v1, v24, v42
	s_waitcnt vmcnt(6)
	v_mul_f32_e32 v7, v60, v52
	v_fma_f32 v6, v58, v49, -v8
	v_mul_f32_e32 v8, v59, v52
	v_fmac_f32_e32 v5, v57, v49
	s_waitcnt vmcnt(5)
	v_mul_f32_e32 v11, v62, v54
	v_mul_f32_e32 v12, v61, v54
	v_fmac_f32_e32 v7, v59, v51
	v_fma_f32 v8, v60, v51, -v8
	s_waitcnt vmcnt(4)
	v_mul_f32_e32 v13, v64, v56
	v_mul_f32_e32 v14, v63, v56
	s_waitcnt vmcnt(2)
	v_mul_f32_e32 v15, v66, v70
	v_mul_f32_e32 v16, v65, v70
	s_waitcnt vmcnt(0)
	v_mul_f32_e32 v17, v68, v72
	v_mul_f32_e32 v18, v67, v72
	v_fmac_f32_e32 v11, v61, v53
	v_fma_f32 v12, v62, v53, -v12
	v_fmac_f32_e32 v13, v63, v55
	v_fma_f32 v14, v64, v55, -v14
	;; [unrolled: 2-line block ×4, first 2 shown]
	ds_write2_b64 v41, v[9:10], v[3:4] offset0:42 offset1:49
	ds_write2_b64 v41, v[75:76], v[1:2] offset0:56 offset1:63
	;; [unrolled: 1-line block ×5, first 2 shown]
.LBB0_3:
	s_or_b32 exec_lo, exec_lo, s1
	s_clause 0x1
	s_load_dwordx2 s[0:1], s[4:5], 0x20
	s_load_dwordx2 s[4:5], s[4:5], 0x8
	v_lshlrev_b32_e32 v33, 3, v48
	s_waitcnt lgkmcnt(0)
	s_barrier
	buffer_gl0_inv
                                        ; implicit-def: $vgpr17
                                        ; implicit-def: $vgpr21
                                        ; implicit-def: $vgpr14
                                        ; implicit-def: $vgpr26
                                        ; implicit-def: $vgpr6
                                        ; implicit-def: $vgpr10
                                        ; implicit-def: $vgpr2
                                        ; implicit-def: $vgpr28
                                        ; implicit-def: $vgpr30
	s_and_saveexec_b32 s2, vcc_lo
	s_cbranch_execz .LBB0_5
; %bb.4:
	v_lshlrev_b32_e32 v1, 3, v32
	v_lshl_add_u32 v20, v47, 3, v33
	ds_read_b64 v[30:31], v1
	ds_read_b64 v[28:29], v0 offset:56
	ds_read2_b64 v[0:3], v20 offset0:14 offset1:21
	ds_read2_b64 v[8:11], v20 offset0:28 offset1:35
	;; [unrolled: 1-line block ×7, first 2 shown]
.LBB0_5:
	s_or_b32 exec_lo, exec_lo, s2
	s_waitcnt lgkmcnt(3)
	v_sub_f32_e32 v26, v28, v26
	s_waitcnt lgkmcnt(1)
	v_sub_f32_e32 v18, v10, v18
	v_sub_f32_e32 v24, v30, v24
	;; [unrolled: 1-line block ×5, first 2 shown]
	s_waitcnt lgkmcnt(0)
	v_sub_f32_e32 v21, v5, v21
	v_sub_f32_e32 v27, v29, v27
	v_fma_f32 v28, v28, 2.0, -v26
	v_sub_f32_e32 v19, v11, v19
	v_fma_f32 v10, v10, 2.0, -v18
	v_sub_f32_e32 v14, v2, v14
	v_sub_f32_e32 v22, v6, v22
	;; [unrolled: 1-line block ×3, first 2 shown]
	v_fma_f32 v30, v30, 2.0, -v24
	v_sub_f32_e32 v13, v1, v13
	v_fma_f32 v8, v8, 2.0, -v16
	v_fma_f32 v9, v9, 2.0, -v17
	v_sub_f32_e32 v20, v4, v20
	v_fma_f32 v5, v5, 2.0, -v21
	;; [unrolled: 3-line block ×3, first 2 shown]
	v_sub_f32_e32 v23, v7, v23
	v_fma_f32 v2, v2, 2.0, -v14
	v_fma_f32 v6, v6, 2.0, -v22
	v_sub_f32_e32 v17, v24, v17
	v_sub_f32_e32 v21, v12, v21
	;; [unrolled: 1-line block ×3, first 2 shown]
	v_fma_f32 v31, v31, 2.0, -v25
	v_fma_f32 v0, v0, 2.0, -v12
	v_fma_f32 v1, v1, 2.0, -v13
	v_fma_f32 v4, v4, 2.0, -v20
	v_fma_f32 v3, v3, 2.0, -v15
	v_sub_f32_e32 v8, v30, v8
	v_fma_f32 v7, v7, 2.0, -v23
	v_add_f32_e32 v16, v16, v25
	v_add_f32_e32 v20, v20, v13
	v_sub_f32_e32 v37, v29, v11
	v_fma_f32 v10, v12, 2.0, -v21
	v_fma_f32 v12, v28, 2.0, -v36
	v_add_f32_e32 v18, v18, v27
	v_sub_f32_e32 v28, v2, v6
	v_add_f32_e32 v22, v22, v15
	v_fmamk_f32 v40, v21, 0x3f3504f3, v17
	v_sub_f32_e32 v34, v31, v9
	v_fma_f32 v9, v30, 2.0, -v8
	v_sub_f32_e32 v30, v0, v4
	v_fma_f32 v24, v24, 2.0, -v17
	v_fma_f32 v25, v25, 2.0, -v16
	v_sub_f32_e32 v35, v1, v5
	v_fma_f32 v11, v13, 2.0, -v20
	v_sub_f32_e32 v13, v26, v19
	;; [unrolled: 2-line block ×3, first 2 shown]
	v_sub_f32_e32 v23, v14, v23
	v_fma_f32 v27, v27, 2.0, -v18
	v_fma_f32 v38, v2, 2.0, -v28
	;; [unrolled: 1-line block ×3, first 2 shown]
	v_fmac_f32_e32 v40, 0xbf3504f3, v20
	v_fma_f32 v31, v31, 2.0, -v34
	v_fma_f32 v0, v0, 2.0, -v30
	v_fma_f32 v1, v1, 2.0, -v35
	v_fma_f32 v26, v26, 2.0, -v13
	v_fma_f32 v39, v3, 2.0, -v29
	v_fma_f32 v14, v14, 2.0, -v23
	v_fmamk_f32 v3, v10, 0xbf3504f3, v24
	v_fmamk_f32 v5, v11, 0xbf3504f3, v25
	v_sub_f32_e32 v6, v8, v35
	v_fmamk_f32 v35, v20, 0x3f3504f3, v16
	v_fma_f32 v20, v17, 2.0, -v40
	v_sub_f32_e32 v17, v12, v38
	v_fmamk_f32 v38, v15, 0xbf3504f3, v27
	v_sub_f32_e32 v0, v9, v0
	v_sub_f32_e32 v4, v31, v1
	v_fmac_f32_e32 v3, 0xbf3504f3, v11
	v_fmac_f32_e32 v5, 0x3f3504f3, v10
	v_add_f32_e32 v11, v30, v34
	v_fmac_f32_e32 v35, 0x3f3504f3, v21
	v_fmamk_f32 v21, v14, 0xbf3504f3, v26
	v_sub_f32_e32 v30, v19, v39
	v_fmac_f32_e32 v38, 0x3f3504f3, v14
	v_fmamk_f32 v39, v23, 0x3f3504f3, v13
	v_fmamk_f32 v41, v22, 0x3f3504f3, v18
	v_fma_f32 v1, v9, 2.0, -v0
	v_fma_f32 v2, v31, 2.0, -v4
	;; [unrolled: 1-line block ×3, first 2 shown]
	v_fmac_f32_e32 v21, 0xbf3504f3, v15
	v_fma_f32 v15, v19, 2.0, -v30
	v_fmac_f32_e32 v39, 0xbf3504f3, v22
	v_fma_f32 v19, v27, 2.0, -v38
	;; [unrolled: 2-line block ×3, first 2 shown]
	v_fma_f32 v10, v34, 2.0, -v11
	v_fma_f32 v34, v16, 2.0, -v35
	;; [unrolled: 1-line block ×3, first 2 shown]
	v_sub_f32_e32 v42, v36, v29
	v_add_f32_e32 v43, v28, v37
	v_fma_f32 v28, v13, 2.0, -v39
	v_fma_f32 v18, v18, 2.0, -v41
	v_sub_f32_e32 v13, v2, v15
	v_fmamk_f32 v15, v19, 0xbf6c835e, v9
	v_fma_f32 v8, v8, 2.0, -v6
	v_fma_f32 v22, v36, 2.0, -v42
	;; [unrolled: 1-line block ×3, first 2 shown]
	v_fmamk_f32 v14, v16, 0xbf6c835e, v7
	v_fmamk_f32 v26, v28, 0xbec3ef15, v20
	;; [unrolled: 1-line block ×3, first 2 shown]
	v_fmac_f32_e32 v15, 0x3ec3ef15, v16
	v_sub_f32_e32 v16, v0, v30
	v_fmamk_f32 v30, v39, 0x3f6c835e, v40
	v_fmamk_f32 v31, v41, 0x3f6c835e, v35
	v_fma_f32 v12, v12, 2.0, -v17
	v_fmac_f32_e32 v14, 0xbec3ef15, v19
	v_fmamk_f32 v24, v22, 0xbf3504f3, v8
	v_fmamk_f32 v25, v23, 0xbf3504f3, v10
	v_fmac_f32_e32 v26, 0xbf6c835e, v18
	v_fmac_f32_e32 v27, 0x3f6c835e, v28
	v_fmamk_f32 v18, v21, 0x3ec3ef15, v3
	v_fmamk_f32 v19, v38, 0x3ec3ef15, v5
	;; [unrolled: 1-line block ×4, first 2 shown]
	v_fmac_f32_e32 v30, 0xbec3ef15, v41
	v_fmac_f32_e32 v31, 0x3ec3ef15, v39
	v_sub_f32_e32 v12, v1, v12
	v_fmac_f32_e32 v24, 0xbf3504f3, v23
	v_fmac_f32_e32 v25, 0x3f3504f3, v22
	v_add_f32_e32 v17, v17, v4
	v_fmac_f32_e32 v18, 0xbf6c835e, v38
	v_fmac_f32_e32 v19, 0x3f6c835e, v21
	;; [unrolled: 1-line block ×4, first 2 shown]
	v_fma_f32 v22, v40, 2.0, -v30
	v_fma_f32 v23, v35, 2.0, -v31
	v_lshlrev_b32_e32 v51, 4, v47
	s_barrier
	buffer_gl0_inv
	s_and_saveexec_b32 s2, vcc_lo
	s_cbranch_execz .LBB0_7
; %bb.6:
	v_fma_f32 v41, v9, 2.0, -v15
	v_fma_f32 v40, v7, 2.0, -v14
	;; [unrolled: 1-line block ×4, first 2 shown]
	v_add_lshl_u32 v1, v48, v51, 3
	v_fma_f32 v37, v5, 2.0, -v19
	v_fma_f32 v36, v3, 2.0, -v18
	;; [unrolled: 1-line block ×10, first 2 shown]
	ds_write_b128 v1, v[38:41]
	ds_write_b128 v1, v[2:5] offset:16
	ds_write_b128 v1, v[34:37] offset:32
	;; [unrolled: 1-line block ×7, first 2 shown]
.LBB0_7:
	s_or_b32 exec_lo, exec_lo, s2
	v_mul_u32_u24_e32 v0, 6, v47
	s_load_dwordx4 s[0:3], s[0:1], 0x0
	s_waitcnt lgkmcnt(0)
	s_barrier
	buffer_gl0_inv
	v_lshlrev_b32_e32 v0, 3, v0
	v_lshlrev_b32_e32 v50, 3, v32
	v_lshl_add_u32 v49, v47, 3, v33
	s_clause 0x2
	global_load_dwordx4 v[8:11], v0, s[4:5]
	global_load_dwordx4 v[4:7], v0, s[4:5] offset:16
	global_load_dwordx4 v[0:3], v0, s[4:5] offset:32
	ds_read2_b64 v[34:37], v50 offset1:16
	ds_read2_b64 v[38:41], v50 offset0:32 offset1:48
	ds_read2_b64 v[52:55], v50 offset0:64 offset1:80
	ds_read_b64 v[20:21], v50 offset:768
	s_waitcnt vmcnt(2) lgkmcnt(3)
	v_mul_f32_e32 v32, v37, v9
	v_mul_f32_e32 v33, v36, v9
	s_waitcnt lgkmcnt(2)
	v_mul_f32_e32 v42, v39, v11
	v_mul_f32_e32 v43, v38, v11
	s_waitcnt vmcnt(0) lgkmcnt(1)
	v_mul_f32_e32 v60, v55, v1
	v_mul_f32_e32 v61, v54, v1
	s_waitcnt lgkmcnt(0)
	v_mul_f32_e32 v62, v21, v3
	v_mul_f32_e32 v63, v20, v3
	;; [unrolled: 1-line block ×6, first 2 shown]
	v_fma_f32 v32, v36, v8, -v32
	v_fmac_f32_e32 v33, v37, v8
	v_fma_f32 v36, v38, v10, -v42
	v_fmac_f32_e32 v43, v39, v10
	v_fma_f32 v20, v20, v2, -v62
	v_fmac_f32_e32 v63, v21, v2
	v_fma_f32 v21, v54, v0, -v60
	v_fmac_f32_e32 v61, v55, v0
	v_fma_f32 v37, v40, v4, -v56
	v_fmac_f32_e32 v57, v41, v4
	v_fma_f32 v38, v52, v6, -v58
	v_fmac_f32_e32 v59, v53, v6
	v_add_f32_e32 v39, v32, v20
	v_add_f32_e32 v40, v33, v63
	v_sub_f32_e32 v20, v32, v20
	v_sub_f32_e32 v32, v33, v63
	v_add_f32_e32 v33, v36, v21
	v_add_f32_e32 v41, v43, v61
	v_sub_f32_e32 v21, v36, v21
	v_sub_f32_e32 v36, v43, v61
	;; [unrolled: 4-line block ×4, first 2 shown]
	v_sub_f32_e32 v39, v39, v42
	v_sub_f32_e32 v40, v40, v43
	v_sub_f32_e32 v33, v42, v33
	v_sub_f32_e32 v41, v43, v41
	v_add_f32_e32 v56, v37, v21
	v_add_f32_e32 v57, v38, v36
	v_sub_f32_e32 v58, v37, v21
	v_sub_f32_e32 v59, v38, v36
	;; [unrolled: 1-line block ×4, first 2 shown]
	v_add_f32_e32 v42, v42, v52
	v_add_f32_e32 v43, v43, v53
	v_sub_f32_e32 v37, v20, v37
	v_sub_f32_e32 v38, v32, v38
	v_add_f32_e32 v52, v56, v20
	v_add_f32_e32 v32, v57, v32
	v_mul_f32_e32 v39, 0x3f4a47b2, v39
	v_mul_f32_e32 v40, 0x3f4a47b2, v40
	;; [unrolled: 1-line block ×8, first 2 shown]
	v_add_f32_e32 v20, v34, v42
	v_add_f32_e32 v21, v35, v43
	v_fmamk_f32 v33, v33, 0x3d64c772, v39
	v_fmamk_f32 v34, v41, 0x3d64c772, v40
	v_fma_f32 v35, 0x3f3bfb3b, v54, -v53
	v_fma_f32 v41, 0x3f3bfb3b, v55, -v56
	;; [unrolled: 1-line block ×4, first 2 shown]
	v_fmamk_f32 v53, v37, 0x3eae86e6, v57
	v_fmamk_f32 v54, v38, 0x3eae86e6, v58
	v_fma_f32 v55, 0x3f5ff5aa, v60, -v57
	v_fma_f32 v56, 0x3f5ff5aa, v36, -v58
	;; [unrolled: 1-line block ×4, first 2 shown]
	v_fmamk_f32 v36, v42, 0xbf955555, v20
	v_fmamk_f32 v37, v43, 0xbf955555, v21
	v_fmac_f32_e32 v53, 0x3ee1c552, v52
	v_fmac_f32_e32 v54, 0x3ee1c552, v32
	;; [unrolled: 1-line block ×6, first 2 shown]
	v_add_f32_e32 v42, v33, v36
	v_add_f32_e32 v43, v34, v37
	;; [unrolled: 1-line block ×7, first 2 shown]
	v_sub_f32_e32 v37, v43, v53
	v_add_f32_e32 v38, v58, v52
	v_sub_f32_e32 v39, v59, v57
	v_sub_f32_e32 v32, v34, v56
	v_add_f32_e32 v33, v55, v35
	v_add_f32_e32 v34, v56, v34
	v_sub_f32_e32 v35, v35, v55
	v_sub_f32_e32 v40, v52, v58
	v_add_f32_e32 v41, v57, v59
	v_sub_f32_e32 v42, v42, v54
	v_add_f32_e32 v43, v53, v43
	ds_write_b64 v50, v[20:21]
	ds_write2_b64 v49, v[36:37], v[38:39] offset0:16 offset1:32
	ds_write2_b64 v49, v[32:33], v[34:35] offset0:48 offset1:64
	;; [unrolled: 1-line block ×3, first 2 shown]
	s_waitcnt lgkmcnt(0)
	s_barrier
	buffer_gl0_inv
	s_and_saveexec_b32 s8, vcc_lo
	s_cbranch_execz .LBB0_9
; %bb.8:
	global_load_dwordx2 v[52:53], v45, s[6:7] offset:896
	s_add_u32 s4, s6, 0x380
	s_addc_u32 s5, s7, 0
	s_clause 0xe
	global_load_dwordx2 v[80:81], v45, s[4:5] offset:56
	global_load_dwordx2 v[82:83], v45, s[4:5] offset:112
	;; [unrolled: 1-line block ×15, first 2 shown]
	ds_read_b64 v[54:55], v50
	s_waitcnt vmcnt(15) lgkmcnt(0)
	v_mul_f32_e32 v56, v55, v53
	v_mul_f32_e32 v57, v54, v53
	v_fma_f32 v56, v54, v52, -v56
	v_fmac_f32_e32 v57, v55, v52
	ds_write_b64 v50, v[56:57]
	ds_read2_b64 v[52:55], v49 offset0:7 offset1:14
	ds_read2_b64 v[56:59], v49 offset0:21 offset1:28
	ds_read2_b64 v[60:63], v49 offset0:35 offset1:42
	ds_read2_b64 v[64:67], v49 offset0:49 offset1:56
	ds_read2_b64 v[68:71], v49 offset0:63 offset1:70
	ds_read2_b64 v[72:75], v49 offset0:77 offset1:84
	ds_read2_b64 v[76:79], v49 offset0:91 offset1:98
	ds_read_b64 v[110:111], v49 offset:840
	s_waitcnt vmcnt(14) lgkmcnt(7)
	v_mul_f32_e32 v112, v53, v81
	v_mul_f32_e32 v113, v52, v81
	s_waitcnt vmcnt(13)
	v_mul_f32_e32 v114, v55, v83
	v_mul_f32_e32 v81, v54, v83
	s_waitcnt vmcnt(12) lgkmcnt(6)
	v_mul_f32_e32 v115, v57, v85
	v_mul_f32_e32 v83, v56, v85
	s_waitcnt vmcnt(11)
	v_mul_f32_e32 v116, v59, v87
	v_mul_f32_e32 v85, v58, v87
	s_waitcnt vmcnt(10) lgkmcnt(5)
	v_mul_f32_e32 v117, v61, v89
	v_mul_f32_e32 v87, v60, v89
	s_waitcnt vmcnt(9)
	v_mul_f32_e32 v118, v63, v91
	v_mul_f32_e32 v89, v62, v91
	s_waitcnt vmcnt(8) lgkmcnt(4)
	v_mul_f32_e32 v119, v65, v93
	v_mul_f32_e32 v91, v64, v93
	s_waitcnt vmcnt(7)
	v_mul_f32_e32 v120, v67, v95
	v_mul_f32_e32 v93, v66, v95
	s_waitcnt vmcnt(6) lgkmcnt(3)
	v_mul_f32_e32 v121, v69, v97
	v_mul_f32_e32 v95, v68, v97
	s_waitcnt vmcnt(5)
	v_mul_f32_e32 v122, v71, v99
	v_mul_f32_e32 v97, v70, v99
	s_waitcnt vmcnt(4) lgkmcnt(2)
	v_mul_f32_e32 v123, v73, v101
	v_mul_f32_e32 v99, v72, v101
	s_waitcnt vmcnt(3)
	v_mul_f32_e32 v124, v75, v103
	v_mul_f32_e32 v101, v74, v103
	s_waitcnt vmcnt(2) lgkmcnt(1)
	v_mul_f32_e32 v125, v77, v105
	v_mul_f32_e32 v103, v76, v105
	s_waitcnt vmcnt(1)
	v_mul_f32_e32 v126, v79, v107
	v_mul_f32_e32 v105, v78, v107
	s_waitcnt vmcnt(0) lgkmcnt(0)
	v_mul_f32_e32 v127, v111, v109
	v_mul_f32_e32 v107, v110, v109
	v_fma_f32 v112, v52, v80, -v112
	v_fmac_f32_e32 v113, v53, v80
	v_fma_f32 v80, v54, v82, -v114
	v_fmac_f32_e32 v81, v55, v82
	;; [unrolled: 2-line block ×15, first 2 shown]
	ds_write2_b64 v49, v[112:113], v[80:81] offset0:7 offset1:14
	ds_write2_b64 v49, v[82:83], v[84:85] offset0:21 offset1:28
	;; [unrolled: 1-line block ×7, first 2 shown]
	ds_write_b64 v49, v[106:107] offset:840
.LBB0_9:
	s_or_b32 exec_lo, exec_lo, s8
	s_waitcnt lgkmcnt(0)
	s_barrier
	buffer_gl0_inv
	s_and_saveexec_b32 s4, vcc_lo
	s_cbranch_execz .LBB0_11
; %bb.10:
	ds_read2_b64 v[12:15], v49 offset0:77 offset1:84
	ds_read2_b64 v[22:25], v49 offset0:91 offset1:98
	;; [unrolled: 1-line block ×7, first 2 shown]
	ds_read_b64 v[20:21], v50
	ds_read_b64 v[30:31], v49 offset:840
	s_waitcnt lgkmcnt(8)
	v_mov_b32_e32 v17, v15
	v_mov_b32_e32 v16, v14
	s_waitcnt lgkmcnt(7)
	v_mov_b32_e32 v19, v23
	v_mov_b32_e32 v18, v22
	;; [unrolled: 1-line block ×6, first 2 shown]
	s_waitcnt lgkmcnt(6)
	v_mov_b32_e32 v24, v54
	v_mov_b32_e32 v25, v55
	;; [unrolled: 1-line block ×4, first 2 shown]
	s_waitcnt lgkmcnt(5)
	v_mov_b32_e32 v12, v58
	v_mov_b32_e32 v13, v59
	v_mov_b32_e32 v22, v56
	v_mov_b32_e32 v23, v57
.LBB0_11:
	s_or_b32 exec_lo, exec_lo, s4
	s_waitcnt lgkmcnt(0)
	s_barrier
	buffer_gl0_inv
	s_and_saveexec_b32 s4, vcc_lo
	s_cbranch_execz .LBB0_13
; %bb.12:
	v_sub_f32_e32 v28, v42, v28
	v_sub_f32_e32 v52, v21, v13
	;; [unrolled: 1-line block ×15, first 2 shown]
	v_add_f32_e32 v61, v31, v26
	v_add_f32_e32 v62, v19, v57
	;; [unrolled: 1-line block ×3, first 2 shown]
	v_fma_f32 v17, v21, 2.0, -v52
	v_fma_f32 v14, v35, 2.0, -v14
	;; [unrolled: 1-line block ×6, first 2 shown]
	v_sub_f32_e32 v16, v34, v16
	v_sub_f32_e32 v53, v25, v28
	;; [unrolled: 1-line block ×4, first 2 shown]
	v_fmamk_f32 v63, v61, 0x3f3504f3, v62
	v_fma_f32 v28, v37, 2.0, -v30
	v_fma_f32 v19, v41, 2.0, -v19
	v_sub_f32_e32 v38, v35, v21
	v_sub_f32_e32 v21, v32, v13
	v_fma_f32 v13, v23, 2.0, -v31
	v_fma_f32 v31, v36, 2.0, -v57
	;; [unrolled: 1-line block ×3, first 2 shown]
	v_sub_f32_e32 v54, v52, v16
	v_add_f32_e32 v59, v29, v24
	v_fmamk_f32 v60, v55, 0x3f3504f3, v56
	v_fmac_f32_e32 v63, 0x3f3504f3, v55
	v_sub_f32_e32 v37, v17, v14
	v_sub_f32_e32 v41, v28, v19
	v_fma_f32 v33, v33, 2.0, -v27
	v_sub_f32_e32 v66, v31, v18
	v_fma_f32 v39, v39, 2.0, -v25
	v_fma_f32 v18, v43, 2.0, -v29
	;; [unrolled: 1-line block ×6, first 2 shown]
	v_fmamk_f32 v58, v53, 0x3f3504f3, v54
	v_fmac_f32_e32 v60, 0xbf3504f3, v61
	v_fmamk_f32 v65, v59, 0x3f3504f3, v64
	v_sub_f32_e32 v36, v37, v38
	v_sub_f32_e32 v40, v41, v21
	;; [unrolled: 1-line block ×4, first 2 shown]
	v_fma_f32 v52, v52, 2.0, -v54
	v_fma_f32 v18, v25, 2.0, -v53
	;; [unrolled: 1-line block ×5, first 2 shown]
	v_sub_f32_e32 v61, v20, v12
	v_fmac_f32_e32 v58, 0xbf3504f3, v59
	v_fmac_f32_e32 v65, 0x3f3504f3, v53
	v_fmamk_f32 v13, v40, 0x3f3504f3, v36
	v_add_f32_e32 v43, v42, v66
	v_fma_f32 v53, v57, 2.0, -v62
	v_fmamk_f32 v16, v18, 0xbf3504f3, v52
	v_fmamk_f32 v34, v23, 0xbf3504f3, v24
	v_add_f32_e32 v67, v29, v61
	v_fmac_f32_e32 v13, 0xbf3504f3, v43
	v_fmamk_f32 v57, v25, 0xbf3504f3, v53
	v_fmac_f32_e32 v16, 0xbf3504f3, v22
	v_fmac_f32_e32 v34, 0xbf3504f3, v25
	v_fma_f32 v68, v17, 2.0, -v37
	v_fma_f32 v17, v39, 2.0, -v29
	v_fmamk_f32 v12, v43, 0x3f3504f3, v67
	v_fma_f32 v39, v54, 2.0, -v58
	v_fma_f32 v54, v56, 2.0, -v60
	v_fmamk_f32 v15, v60, 0x3f6c835e, v58
	v_fmamk_f32 v59, v22, 0xbf3504f3, v55
	v_fmac_f32_e32 v57, 0x3f3504f3, v23
	v_fmamk_f32 v23, v34, 0x3ec3ef15, v16
	v_fma_f32 v69, v31, 2.0, -v66
	v_fma_f32 v21, v32, 2.0, -v21
	v_sub_f32_e32 v32, v68, v17
	v_fma_f32 v17, v36, 2.0, -v13
	v_fmac_f32_e32 v12, 0x3f3504f3, v40
	v_fma_f32 v25, v33, 2.0, -v42
	v_fmamk_f32 v31, v54, 0xbec3ef15, v39
	v_fma_f32 v29, v62, 2.0, -v63
	v_fma_f32 v33, v64, 2.0, -v65
	;; [unrolled: 1-line block ×4, first 2 shown]
	v_fmac_f32_e32 v15, 0xbec3ef15, v63
	v_fmac_f32_e32 v59, 0x3f3504f3, v18
	;; [unrolled: 1-line block ×3, first 2 shown]
	v_sub_f32_e32 v70, v69, v21
	v_fma_f32 v56, v20, 2.0, -v61
	v_fma_f32 v20, v35, 2.0, -v38
	;; [unrolled: 1-line block ×3, first 2 shown]
	v_fmac_f32_e32 v31, 0xbf6c835e, v29
	v_fmamk_f32 v30, v29, 0xbec3ef15, v33
	v_fmamk_f32 v29, v40, 0xbf3504f3, v36
	v_fma_f32 v41, v66, 2.0, -v43
	v_fma_f32 v19, v58, 2.0, -v15
	v_fmamk_f32 v22, v57, 0x3ec3ef15, v59
	v_fma_f32 v27, v16, 2.0, -v23
	v_sub_f32_e32 v21, v32, v70
	v_sub_f32_e32 v58, v56, v20
	;; [unrolled: 1-line block ×3, first 2 shown]
	v_fmac_f32_e32 v30, 0x3f6c835e, v54
	v_fmac_f32_e32 v29, 0xbf3504f3, v41
	v_fma_f32 v16, v52, 2.0, -v16
	v_fma_f32 v24, v24, 2.0, -v34
	;; [unrolled: 1-line block ×5, first 2 shown]
	v_fmac_f32_e32 v22, 0x3f6c835e, v34
	v_fma_f32 v25, v32, 2.0, -v21
	v_fma_f32 v35, v39, 2.0, -v31
	;; [unrolled: 1-line block ×4, first 2 shown]
	v_fmamk_f32 v39, v24, 0xbf6c835e, v16
	v_fmamk_f32 v38, v42, 0xbf6c835e, v52
	v_fma_f32 v32, v68, 2.0, -v32
	v_fma_f32 v36, v28, 2.0, -v37
	;; [unrolled: 1-line block ×4, first 2 shown]
	v_fmamk_f32 v28, v41, 0xbf3504f3, v53
	v_fmamk_f32 v14, v63, 0x3f6c835e, v65
	v_add_f32_e32 v20, v37, v58
	v_fmac_f32_e32 v39, 0xbec3ef15, v42
	v_fmac_f32_e32 v38, 0x3ec3ef15, v24
	v_sub_f32_e32 v37, v32, v36
	v_sub_f32_e32 v36, v54, v43
	v_fmac_f32_e32 v28, 0x3f3504f3, v40
	v_fmac_f32_e32 v14, 0x3ec3ef15, v60
	v_fma_f32 v43, v16, 2.0, -v39
	v_fma_f32 v42, v52, 2.0, -v38
	;; [unrolled: 1-line block ×4, first 2 shown]
	v_add_lshl_u32 v48, v48, v51, 3
	v_fma_f32 v32, v53, 2.0, -v28
	v_fma_f32 v26, v59, 2.0, -v22
	;; [unrolled: 1-line block ×5, first 2 shown]
	ds_write_b128 v48, v[40:43]
	ds_write_b128 v48, v[32:35] offset:16
	ds_write_b128 v48, v[24:27] offset:32
	;; [unrolled: 1-line block ×7, first 2 shown]
.LBB0_13:
	s_or_b32 exec_lo, exec_lo, s4
	s_waitcnt lgkmcnt(0)
	s_barrier
	buffer_gl0_inv
	ds_read2_b64 v[12:15], v50 offset1:16
	ds_read2_b64 v[16:19], v50 offset0:32 offset1:48
	ds_read2_b64 v[20:23], v50 offset0:64 offset1:80
	ds_read_b64 v[24:25], v50 offset:768
	s_waitcnt lgkmcnt(3)
	v_mul_f32_e32 v26, v9, v15
	v_mul_f32_e32 v9, v9, v14
	s_waitcnt lgkmcnt(2)
	v_mul_f32_e32 v27, v11, v17
	v_mul_f32_e32 v11, v11, v16
	;; [unrolled: 3-line block ×4, first 2 shown]
	v_mul_f32_e32 v28, v5, v19
	v_mul_f32_e32 v5, v5, v18
	;; [unrolled: 1-line block ×4, first 2 shown]
	v_fmac_f32_e32 v26, v8, v14
	v_fma_f32 v8, v8, v15, -v9
	v_fmac_f32_e32 v27, v10, v16
	v_fma_f32 v9, v10, v17, -v11
	v_fmac_f32_e32 v31, v2, v24
	v_fma_f32 v2, v2, v25, -v3
	v_fmac_f32_e32 v30, v0, v22
	v_fma_f32 v0, v0, v23, -v1
	v_fmac_f32_e32 v28, v4, v18
	v_fma_f32 v4, v4, v19, -v5
	v_fmac_f32_e32 v29, v6, v20
	v_fma_f32 v3, v6, v21, -v7
	v_add_f32_e32 v1, v26, v31
	v_add_f32_e32 v5, v8, v2
	v_sub_f32_e32 v2, v8, v2
	v_add_f32_e32 v7, v27, v30
	v_add_f32_e32 v8, v9, v0
	v_sub_f32_e32 v6, v26, v31
	v_sub_f32_e32 v10, v27, v30
	;; [unrolled: 1-line block ×3, first 2 shown]
	v_add_f32_e32 v9, v28, v29
	v_add_f32_e32 v11, v4, v3
	v_sub_f32_e32 v14, v29, v28
	v_sub_f32_e32 v3, v3, v4
	v_add_f32_e32 v4, v7, v1
	v_add_f32_e32 v15, v8, v5
	v_sub_f32_e32 v16, v7, v1
	v_sub_f32_e32 v17, v8, v5
	;; [unrolled: 1-line block ×6, first 2 shown]
	v_add_f32_e32 v1, v14, v10
	v_add_f32_e32 v19, v3, v0
	v_sub_f32_e32 v20, v14, v10
	v_sub_f32_e32 v21, v3, v0
	;; [unrolled: 1-line block ×3, first 2 shown]
	v_add_f32_e32 v4, v9, v4
	v_add_f32_e32 v9, v11, v15
	v_sub_f32_e32 v11, v0, v2
	v_sub_f32_e32 v14, v6, v14
	;; [unrolled: 1-line block ×3, first 2 shown]
	v_add_f32_e32 v6, v1, v6
	v_add_f32_e32 v2, v19, v2
	;; [unrolled: 1-line block ×4, first 2 shown]
	v_mul_f32_e32 v12, 0x3f4a47b2, v18
	v_mul_f32_e32 v5, 0x3f4a47b2, v5
	v_mul_f32_e32 v13, 0x3d64c772, v7
	v_mul_f32_e32 v15, 0x3d64c772, v8
	v_mul_f32_e32 v18, 0x3f08b237, v20
	v_mul_f32_e32 v19, 0x3f08b237, v21
	v_mul_f32_e32 v20, 0xbf5ff5aa, v10
	v_mul_f32_e32 v21, 0xbf5ff5aa, v11
	v_fmamk_f32 v4, v4, 0xbf955555, v0
	v_fmamk_f32 v9, v9, 0xbf955555, v1
	;; [unrolled: 1-line block ×4, first 2 shown]
	v_fma_f32 v13, 0x3f3bfb3b, v16, -v13
	v_fma_f32 v15, 0x3f3bfb3b, v17, -v15
	;; [unrolled: 1-line block ×4, first 2 shown]
	v_fmamk_f32 v16, v14, 0xbeae86e6, v18
	v_fmamk_f32 v17, v3, 0xbeae86e6, v19
	v_fma_f32 v10, 0xbf5ff5aa, v10, -v18
	v_fma_f32 v14, 0x3eae86e6, v14, -v20
	v_fma_f32 v18, 0x3eae86e6, v3, -v21
	v_fma_f32 v11, 0xbf5ff5aa, v11, -v19
	v_add_f32_e32 v19, v7, v4
	v_add_f32_e32 v20, v8, v9
	;; [unrolled: 1-line block ×6, first 2 shown]
	v_fmac_f32_e32 v16, 0xbee1c552, v6
	v_fmac_f32_e32 v17, 0xbee1c552, v2
	;; [unrolled: 1-line block ×6, first 2 shown]
	v_add_f32_e32 v2, v17, v19
	v_sub_f32_e32 v3, v20, v16
	v_add_f32_e32 v4, v18, v12
	v_sub_f32_e32 v5, v15, v14
	v_sub_f32_e32 v6, v8, v11
	v_add_f32_e32 v7, v10, v13
	v_add_f32_e32 v8, v11, v8
	v_sub_f32_e32 v9, v13, v10
	v_sub_f32_e32 v10, v12, v18
	v_add_f32_e32 v11, v14, v15
	v_sub_f32_e32 v12, v19, v17
	v_add_f32_e32 v13, v16, v20
	ds_write_b64 v50, v[0:1]
	ds_write2_b64 v49, v[2:3], v[4:5] offset0:16 offset1:32
	ds_write2_b64 v49, v[6:7], v[8:9] offset0:48 offset1:64
	;; [unrolled: 1-line block ×3, first 2 shown]
	s_waitcnt lgkmcnt(0)
	s_barrier
	buffer_gl0_inv
	s_and_b32 exec_lo, exec_lo, vcc_lo
	s_cbranch_execz .LBB0_15
; %bb.14:
	s_clause 0xc
	global_load_dwordx2 v[24:25], v45, s[6:7]
	global_load_dwordx2 v[26:27], v45, s[6:7] offset:56
	global_load_dwordx2 v[28:29], v45, s[6:7] offset:112
	;; [unrolled: 1-line block ×12, first 2 shown]
	v_mad_u64_u32 v[0:1], null, s2, v44, 0
	v_mad_u64_u32 v[2:3], null, s0, v47, 0
	s_mul_hi_u32 s4, s0, 56
	s_mul_i32 s2, s0, 56
	v_mad_u64_u32 v[71:72], null, s0, v46, 0
	ds_read_b64 v[75:76], v50
	v_mad_u64_u32 v[4:5], null, s3, v44, v[1:2]
	s_mul_i32 s3, s1, 56
	s_add_i32 s3, s4, s3
	v_mad_u64_u32 v[5:6], null, s1, v47, v[3:4]
	v_mov_b32_e32 v1, v4
	v_mov_b32_e32 v4, v72
	v_lshlrev_b64 v[0:1], 3, v[0:1]
	v_mov_b32_e32 v3, v5
	v_mad_u64_u32 v[16:17], null, s1, v46, v[4:5]
	ds_read2_b64 v[4:7], v49 offset0:21 offset1:28
	v_lshlrev_b64 v[2:3], 3, v[2:3]
	v_add_co_u32 v44, vcc_lo, s12, v0
	v_add_co_ci_u32_e32 v82, vcc_lo, s13, v1, vcc_lo
	v_mov_b32_e32 v72, v16
	v_add_co_u32 v47, vcc_lo, v44, v2
	v_add_co_ci_u32_e32 v48, vcc_lo, v82, v3, vcc_lo
	ds_read2_b64 v[0:3], v49 offset0:7 offset1:14
	v_add_co_u32 v57, vcc_lo, v47, s2
	v_add_co_ci_u32_e32 v58, vcc_lo, s3, v48, vcc_lo
	v_lshlrev_b64 v[71:72], 3, v[71:72]
	v_add_co_u32 v59, vcc_lo, v57, s2
	v_add_co_ci_u32_e32 v60, vcc_lo, s3, v58, vcc_lo
	v_add_co_u32 v61, vcc_lo, v59, s2
	v_add_co_ci_u32_e32 v62, vcc_lo, s3, v60, vcc_lo
	;; [unrolled: 2-line block ×6, first 2 shown]
	v_mad_u64_u32 v[73:74], null, 0x70, s0, v[69:70]
	v_mov_b32_e32 v8, v74
	v_add_co_u32 v80, vcc_lo, v73, s2
	v_mad_u64_u32 v[77:78], null, 0x70, s1, v[8:9]
	ds_read2_b64 v[8:11], v49 offset0:35 offset1:42
	ds_read2_b64 v[12:15], v49 offset0:49 offset1:56
	;; [unrolled: 1-line block ×4, first 2 shown]
	ds_read_b64 v[78:79], v49 offset:840
	s_mov_b32 s0, 0x92492492
	s_mov_b32 s1, 0x3f824924
	v_mov_b32_e32 v74, v77
	v_add_co_ci_u32_e32 v81, vcc_lo, s3, v74, vcc_lo
	s_waitcnt vmcnt(12) lgkmcnt(7)
	v_mul_f32_e32 v46, v76, v25
	v_mul_f32_e32 v25, v75, v25
	s_waitcnt vmcnt(11) lgkmcnt(5)
	v_mul_f32_e32 v50, v1, v27
	v_mul_f32_e32 v27, v0, v27
	s_waitcnt vmcnt(10)
	v_mul_f32_e32 v77, v3, v29
	v_mul_f32_e32 v29, v2, v29
	s_waitcnt vmcnt(9)
	;; [unrolled: 3-line block ×3, first 2 shown]
	v_mul_f32_e32 v84, v7, v33
	v_mul_f32_e32 v33, v6, v33
	s_waitcnt vmcnt(7) lgkmcnt(4)
	v_mul_f32_e32 v85, v9, v35
	v_mul_f32_e32 v35, v8, v35
	v_fmac_f32_e32 v46, v75, v24
	v_fma_f32 v24, v24, v76, -v25
	s_waitcnt vmcnt(6)
	v_mul_f32_e32 v86, v11, v37
	v_mul_f32_e32 v37, v10, v37
	v_fmac_f32_e32 v50, v0, v26
	v_fma_f32 v25, v26, v1, -v27
	s_waitcnt vmcnt(5) lgkmcnt(3)
	v_mul_f32_e32 v87, v13, v39
	v_mul_f32_e32 v39, v12, v39
	v_fmac_f32_e32 v77, v2, v28
	v_fma_f32 v26, v28, v3, -v29
	s_waitcnt vmcnt(4)
	v_mul_f32_e32 v88, v15, v41
	v_mul_f32_e32 v41, v14, v41
	v_fmac_f32_e32 v83, v4, v30
	v_fma_f32 v27, v30, v5, -v31
	s_waitcnt vmcnt(3) lgkmcnt(2)
	v_mul_f32_e32 v89, v17, v43
	v_mul_f32_e32 v43, v16, v43
	s_waitcnt vmcnt(2)
	v_mul_f32_e32 v90, v19, v52
	v_mul_f32_e32 v52, v18, v52
	v_fmac_f32_e32 v84, v6, v32
	v_fma_f32 v28, v32, v7, -v33
	s_waitcnt vmcnt(1) lgkmcnt(1)
	v_mul_f32_e32 v91, v21, v54
	v_mul_f32_e32 v54, v20, v54
	s_waitcnt vmcnt(0)
	v_mul_f32_e32 v92, v23, v56
	v_mul_f32_e32 v56, v22, v56
	v_fmac_f32_e32 v85, v8, v34
	v_fma_f32 v29, v34, v9, -v35
	v_cvt_f64_f32_e32 v[0:1], v46
	v_cvt_f64_f32_e32 v[2:3], v24
	v_fmac_f32_e32 v86, v10, v36
	v_fma_f32 v30, v36, v11, -v37
	v_cvt_f64_f32_e32 v[4:5], v50
	v_cvt_f64_f32_e32 v[6:7], v25
	;; [unrolled: 4-line block ×4, first 2 shown]
	v_fmac_f32_e32 v89, v16, v42
	v_fma_f32 v38, v42, v17, -v43
	v_fmac_f32_e32 v90, v18, v51
	v_fma_f32 v42, v51, v19, -v52
	v_cvt_f64_f32_e32 v[16:17], v84
	v_cvt_f64_f32_e32 v[18:19], v28
	v_fmac_f32_e32 v91, v20, v53
	v_fma_f32 v52, v53, v21, -v54
	v_fmac_f32_e32 v92, v22, v55
	v_fma_f32 v56, v55, v23, -v56
	v_cvt_f64_f32_e32 v[20:21], v85
	v_cvt_f64_f32_e32 v[22:23], v29
	;; [unrolled: 1-line block ×16, first 2 shown]
	v_mul_f64 v[0:1], v[0:1], s[0:1]
	v_mul_f64 v[2:3], v[2:3], s[0:1]
	;; [unrolled: 1-line block ×26, first 2 shown]
	v_cvt_f32_f64_e32 v0, v[0:1]
	v_cvt_f32_f64_e32 v1, v[2:3]
	;; [unrolled: 1-line block ×26, first 2 shown]
	v_add_co_u32 v26, vcc_lo, v80, s2
	v_add_co_ci_u32_e32 v27, vcc_lo, s3, v81, vcc_lo
	v_add_co_u32 v28, vcc_lo, v44, v71
	v_add_co_ci_u32_e32 v29, vcc_lo, v82, v72, vcc_lo
	v_add_co_u32 v30, vcc_lo, v26, s2
	v_add_co_ci_u32_e32 v31, vcc_lo, s3, v27, vcc_lo
	global_store_dwordx2 v[47:48], v[0:1], off
	global_store_dwordx2 v[57:58], v[2:3], off
	;; [unrolled: 1-line block ×13, first 2 shown]
	global_load_dwordx2 v[4:5], v45, s[6:7] offset:728
	ds_read2_b64 v[0:3], v49 offset0:91 offset1:98
	s_waitcnt vmcnt(0) lgkmcnt(0)
	v_mul_f32_e32 v6, v1, v5
	v_mul_f32_e32 v5, v0, v5
	v_fmac_f32_e32 v6, v0, v4
	v_fma_f32 v4, v4, v1, -v5
	v_cvt_f64_f32_e32 v[0:1], v6
	v_cvt_f64_f32_e32 v[4:5], v4
	v_mul_f64 v[0:1], v[0:1], s[0:1]
	v_mul_f64 v[4:5], v[4:5], s[0:1]
	v_cvt_f32_f64_e32 v0, v[0:1]
	v_cvt_f32_f64_e32 v1, v[4:5]
	v_add_co_u32 v4, vcc_lo, v30, s2
	v_add_co_ci_u32_e32 v5, vcc_lo, s3, v31, vcc_lo
	global_store_dwordx2 v[4:5], v[0:1], off
	global_load_dwordx2 v[0:1], v45, s[6:7] offset:784
	s_waitcnt vmcnt(0)
	v_mul_f32_e32 v6, v3, v1
	v_mul_f32_e32 v1, v2, v1
	v_fmac_f32_e32 v6, v2, v0
	v_fma_f32 v2, v0, v3, -v1
	v_cvt_f64_f32_e32 v[0:1], v6
	v_cvt_f64_f32_e32 v[2:3], v2
	v_mul_f64 v[0:1], v[0:1], s[0:1]
	v_mul_f64 v[2:3], v[2:3], s[0:1]
	v_cvt_f32_f64_e32 v0, v[0:1]
	v_cvt_f32_f64_e32 v1, v[2:3]
	v_add_co_u32 v2, vcc_lo, v4, s2
	v_add_co_ci_u32_e32 v3, vcc_lo, s3, v5, vcc_lo
	global_store_dwordx2 v[2:3], v[0:1], off
	global_load_dwordx2 v[0:1], v45, s[6:7] offset:840
	v_add_co_u32 v2, vcc_lo, v2, s2
	v_add_co_ci_u32_e32 v3, vcc_lo, s3, v3, vcc_lo
	s_waitcnt vmcnt(0)
	v_mul_f32_e32 v4, v79, v1
	v_mul_f32_e32 v1, v78, v1
	v_fmac_f32_e32 v4, v78, v0
	v_fma_f32 v5, v0, v79, -v1
	v_cvt_f64_f32_e32 v[0:1], v4
	v_cvt_f64_f32_e32 v[4:5], v5
	v_mul_f64 v[0:1], v[0:1], s[0:1]
	v_mul_f64 v[4:5], v[4:5], s[0:1]
	v_cvt_f32_f64_e32 v0, v[0:1]
	v_cvt_f32_f64_e32 v1, v[4:5]
	global_store_dwordx2 v[2:3], v[0:1], off
.LBB0_15:
	s_endpgm
	.section	.rodata,"a",@progbits
	.p2align	6, 0x0
	.amdhsa_kernel bluestein_single_back_len112_dim1_sp_op_CI_CI
		.amdhsa_group_segment_fixed_size 14336
		.amdhsa_private_segment_fixed_size 0
		.amdhsa_kernarg_size 104
		.amdhsa_user_sgpr_count 6
		.amdhsa_user_sgpr_private_segment_buffer 1
		.amdhsa_user_sgpr_dispatch_ptr 0
		.amdhsa_user_sgpr_queue_ptr 0
		.amdhsa_user_sgpr_kernarg_segment_ptr 1
		.amdhsa_user_sgpr_dispatch_id 0
		.amdhsa_user_sgpr_flat_scratch_init 0
		.amdhsa_user_sgpr_private_segment_size 0
		.amdhsa_wavefront_size32 1
		.amdhsa_uses_dynamic_stack 0
		.amdhsa_system_sgpr_private_segment_wavefront_offset 0
		.amdhsa_system_sgpr_workgroup_id_x 1
		.amdhsa_system_sgpr_workgroup_id_y 0
		.amdhsa_system_sgpr_workgroup_id_z 0
		.amdhsa_system_sgpr_workgroup_info 0
		.amdhsa_system_vgpr_workitem_id 0
		.amdhsa_next_free_vgpr 128
		.amdhsa_next_free_sgpr 14
		.amdhsa_reserve_vcc 1
		.amdhsa_reserve_flat_scratch 0
		.amdhsa_float_round_mode_32 0
		.amdhsa_float_round_mode_16_64 0
		.amdhsa_float_denorm_mode_32 3
		.amdhsa_float_denorm_mode_16_64 3
		.amdhsa_dx10_clamp 1
		.amdhsa_ieee_mode 1
		.amdhsa_fp16_overflow 0
		.amdhsa_workgroup_processor_mode 1
		.amdhsa_memory_ordered 1
		.amdhsa_forward_progress 0
		.amdhsa_shared_vgpr_count 0
		.amdhsa_exception_fp_ieee_invalid_op 0
		.amdhsa_exception_fp_denorm_src 0
		.amdhsa_exception_fp_ieee_div_zero 0
		.amdhsa_exception_fp_ieee_overflow 0
		.amdhsa_exception_fp_ieee_underflow 0
		.amdhsa_exception_fp_ieee_inexact 0
		.amdhsa_exception_int_div_zero 0
	.end_amdhsa_kernel
	.text
.Lfunc_end0:
	.size	bluestein_single_back_len112_dim1_sp_op_CI_CI, .Lfunc_end0-bluestein_single_back_len112_dim1_sp_op_CI_CI
                                        ; -- End function
	.section	.AMDGPU.csdata,"",@progbits
; Kernel info:
; codeLenInByte = 7520
; NumSgprs: 16
; NumVgprs: 128
; ScratchSize: 0
; MemoryBound: 0
; FloatMode: 240
; IeeeMode: 1
; LDSByteSize: 14336 bytes/workgroup (compile time only)
; SGPRBlocks: 1
; VGPRBlocks: 15
; NumSGPRsForWavesPerEU: 16
; NumVGPRsForWavesPerEU: 128
; Occupancy: 8
; WaveLimiterHint : 1
; COMPUTE_PGM_RSRC2:SCRATCH_EN: 0
; COMPUTE_PGM_RSRC2:USER_SGPR: 6
; COMPUTE_PGM_RSRC2:TRAP_HANDLER: 0
; COMPUTE_PGM_RSRC2:TGID_X_EN: 1
; COMPUTE_PGM_RSRC2:TGID_Y_EN: 0
; COMPUTE_PGM_RSRC2:TGID_Z_EN: 0
; COMPUTE_PGM_RSRC2:TIDIG_COMP_CNT: 0
	.text
	.p2alignl 6, 3214868480
	.fill 48, 4, 3214868480
	.type	__hip_cuid_f08afcef6fb59b7c,@object ; @__hip_cuid_f08afcef6fb59b7c
	.section	.bss,"aw",@nobits
	.globl	__hip_cuid_f08afcef6fb59b7c
__hip_cuid_f08afcef6fb59b7c:
	.byte	0                               ; 0x0
	.size	__hip_cuid_f08afcef6fb59b7c, 1

	.ident	"AMD clang version 19.0.0git (https://github.com/RadeonOpenCompute/llvm-project roc-6.4.0 25133 c7fe45cf4b819c5991fe208aaa96edf142730f1d)"
	.section	".note.GNU-stack","",@progbits
	.addrsig
	.addrsig_sym __hip_cuid_f08afcef6fb59b7c
	.amdgpu_metadata
---
amdhsa.kernels:
  - .args:
      - .actual_access:  read_only
        .address_space:  global
        .offset:         0
        .size:           8
        .value_kind:     global_buffer
      - .actual_access:  read_only
        .address_space:  global
        .offset:         8
        .size:           8
        .value_kind:     global_buffer
      - .actual_access:  read_only
        .address_space:  global
        .offset:         16
        .size:           8
        .value_kind:     global_buffer
      - .actual_access:  read_only
        .address_space:  global
        .offset:         24
        .size:           8
        .value_kind:     global_buffer
      - .actual_access:  read_only
        .address_space:  global
        .offset:         32
        .size:           8
        .value_kind:     global_buffer
      - .offset:         40
        .size:           8
        .value_kind:     by_value
      - .address_space:  global
        .offset:         48
        .size:           8
        .value_kind:     global_buffer
      - .address_space:  global
        .offset:         56
        .size:           8
        .value_kind:     global_buffer
      - .address_space:  global
        .offset:         64
        .size:           8
        .value_kind:     global_buffer
      - .address_space:  global
        .offset:         72
        .size:           8
        .value_kind:     global_buffer
      - .offset:         80
        .size:           4
        .value_kind:     by_value
      - .address_space:  global
        .offset:         88
        .size:           8
        .value_kind:     global_buffer
      - .address_space:  global
        .offset:         96
        .size:           8
        .value_kind:     global_buffer
    .group_segment_fixed_size: 14336
    .kernarg_segment_align: 8
    .kernarg_segment_size: 104
    .language:       OpenCL C
    .language_version:
      - 2
      - 0
    .max_flat_workgroup_size: 256
    .name:           bluestein_single_back_len112_dim1_sp_op_CI_CI
    .private_segment_fixed_size: 0
    .sgpr_count:     16
    .sgpr_spill_count: 0
    .symbol:         bluestein_single_back_len112_dim1_sp_op_CI_CI.kd
    .uniform_work_group_size: 1
    .uses_dynamic_stack: false
    .vgpr_count:     128
    .vgpr_spill_count: 0
    .wavefront_size: 32
    .workgroup_processor_mode: 1
amdhsa.target:   amdgcn-amd-amdhsa--gfx1030
amdhsa.version:
  - 1
  - 2
...

	.end_amdgpu_metadata
